;; amdgpu-corpus repo=ROCm/rocFFT kind=compiled arch=gfx906 opt=O3
	.text
	.amdgcn_target "amdgcn-amd-amdhsa--gfx906"
	.amdhsa_code_object_version 6
	.protected	fft_rtc_fwd_len224_factors_8_7_4_wgs_504_tpt_56_dp_op_CI_CI_sbcc_twdbase8_2step ; -- Begin function fft_rtc_fwd_len224_factors_8_7_4_wgs_504_tpt_56_dp_op_CI_CI_sbcc_twdbase8_2step
	.globl	fft_rtc_fwd_len224_factors_8_7_4_wgs_504_tpt_56_dp_op_CI_CI_sbcc_twdbase8_2step
	.p2align	8
	.type	fft_rtc_fwd_len224_factors_8_7_4_wgs_504_tpt_56_dp_op_CI_CI_sbcc_twdbase8_2step,@function
fft_rtc_fwd_len224_factors_8_7_4_wgs_504_tpt_56_dp_op_CI_CI_sbcc_twdbase8_2step: ; @fft_rtc_fwd_len224_factors_8_7_4_wgs_504_tpt_56_dp_op_CI_CI_sbcc_twdbase8_2step
; %bb.0:
	s_load_dwordx4 s[0:3], s[4:5], 0x18
	s_load_dwordx2 s[30:31], s[4:5], 0x28
	s_mov_b32 s7, 0
	s_mov_b64 s[24:25], 0
	s_waitcnt lgkmcnt(0)
	s_load_dwordx2 s[28:29], s[0:1], 0x8
	s_waitcnt lgkmcnt(0)
	s_add_u32 s8, s28, -1
	s_addc_u32 s9, s29, -1
	s_add_u32 s10, 0, 0x71c4fc00
	s_addc_u32 s11, 0, 0x7c
	s_mul_hi_u32 s13, s10, -9
	s_add_i32 s11, s11, 0x1c71c6a0
	s_sub_i32 s13, s13, s10
	s_mul_i32 s16, s11, -9
	s_mul_i32 s12, s10, -9
	s_add_i32 s13, s13, s16
	s_mul_hi_u32 s14, s11, s12
	s_mul_i32 s15, s11, s12
	s_mul_i32 s17, s10, s13
	s_mul_hi_u32 s12, s10, s12
	s_mul_hi_u32 s16, s10, s13
	s_add_u32 s12, s12, s17
	s_addc_u32 s16, 0, s16
	s_add_u32 s12, s12, s15
	s_mul_hi_u32 s17, s11, s13
	s_addc_u32 s12, s16, s14
	s_addc_u32 s14, s17, 0
	s_mul_i32 s13, s11, s13
	s_add_u32 s12, s12, s13
	v_mov_b32_e32 v1, s12
	s_addc_u32 s13, 0, s14
	v_add_co_u32_e32 v1, vcc, s10, v1
	s_cmp_lg_u64 vcc, 0
	s_addc_u32 s10, s11, s13
	v_readfirstlane_b32 s13, v1
	s_mul_i32 s12, s8, s10
	s_mul_hi_u32 s14, s8, s13
	s_mul_hi_u32 s11, s8, s10
	s_add_u32 s12, s14, s12
	s_addc_u32 s11, 0, s11
	s_mul_hi_u32 s15, s9, s13
	s_mul_i32 s13, s9, s13
	s_add_u32 s12, s12, s13
	s_mul_hi_u32 s14, s9, s10
	s_addc_u32 s11, s11, s15
	s_addc_u32 s12, s14, 0
	s_mul_i32 s10, s9, s10
	s_add_u32 s10, s11, s10
	s_addc_u32 s11, 0, s12
	s_add_u32 s12, s10, 1
	s_addc_u32 s13, s11, 0
	s_add_u32 s14, s10, 2
	s_mul_i32 s16, s11, 9
	s_mul_hi_u32 s17, s10, 9
	s_addc_u32 s15, s11, 0
	s_add_i32 s17, s17, s16
	s_mul_i32 s16, s10, 9
	v_mov_b32_e32 v1, s16
	v_sub_co_u32_e32 v1, vcc, s8, v1
	s_cmp_lg_u64 vcc, 0
	s_subb_u32 s8, s9, s17
	v_subrev_co_u32_e32 v2, vcc, 9, v1
	s_cmp_lg_u64 vcc, 0
	s_subb_u32 s9, s8, 0
	v_readfirstlane_b32 s16, v2
	s_cmp_gt_u32 s16, 8
	s_cselect_b32 s16, -1, 0
	s_cmp_eq_u32 s9, 0
	s_cselect_b32 s9, s16, -1
	s_cmp_lg_u32 s9, 0
	s_cselect_b32 s9, s14, s12
	s_cselect_b32 s12, s15, s13
	v_readfirstlane_b32 s13, v1
	s_cmp_gt_u32 s13, 8
	s_cselect_b32 s13, -1, 0
	s_cmp_eq_u32 s8, 0
	s_cselect_b32 s8, s13, -1
	s_cmp_lg_u32 s8, 0
	s_cselect_b32 s9, s9, s10
	s_cselect_b32 s8, s12, s11
	s_add_u32 s36, s9, 1
	s_addc_u32 s37, s8, 0
	v_mov_b32_e32 v1, s36
	v_mov_b32_e32 v2, s37
	v_cmp_lt_u64_e32 vcc, s[6:7], v[1:2]
	s_cbranch_vccnz .LBB0_2
; %bb.1:
	v_cvt_f32_u32_e32 v1, s36
	s_sub_i32 s8, 0, s36
	s_mov_b32 s25, s7
	v_rcp_iflag_f32_e32 v1, v1
	v_mul_f32_e32 v1, 0x4f7ffffe, v1
	v_cvt_u32_f32_e32 v1, v1
	v_readfirstlane_b32 s9, v1
	s_mul_i32 s8, s8, s9
	s_mul_hi_u32 s8, s9, s8
	s_add_i32 s9, s9, s8
	s_mul_hi_u32 s8, s6, s9
	s_mul_i32 s10, s8, s36
	s_sub_i32 s10, s6, s10
	s_add_i32 s9, s8, 1
	s_sub_i32 s11, s10, s36
	s_cmp_ge_u32 s10, s36
	s_cselect_b32 s8, s9, s8
	s_cselect_b32 s10, s11, s10
	s_add_i32 s9, s8, 1
	s_cmp_ge_u32 s10, s36
	s_cselect_b32 s24, s9, s8
.LBB0_2:
	s_load_dwordx4 s[12:15], s[4:5], 0x60
	s_load_dwordx4 s[20:23], s[2:3], 0x0
	;; [unrolled: 1-line block ×3, first 2 shown]
	s_load_dwordx2 s[26:27], s[4:5], 0x0
	s_load_dwordx4 s[16:19], s[4:5], 0x8
	s_mul_i32 s4, s24, s37
	s_mul_hi_u32 s5, s24, s36
	s_add_i32 s5, s5, s4
	s_mul_i32 s4, s24, s36
	s_sub_u32 s52, s6, s4
	s_subb_u32 s4, 0, s5
	s_mul_i32 s4, s4, 9
	s_mul_hi_u32 s33, s52, 9
	s_add_i32 s33, s33, s4
	s_mul_i32 s52, s52, 9
	s_waitcnt lgkmcnt(0)
	s_mul_i32 s4, s22, s33
	s_mul_hi_u32 s5, s22, s52
	s_add_i32 s4, s5, s4
	s_mul_i32 s5, s23, s52
	s_add_i32 s35, s4, s5
	s_mul_i32 s4, s10, s33
	s_mul_hi_u32 s5, s10, s52
	v_cmp_lt_u64_e64 s[38:39], s[18:19], 3
	s_add_i32 s4, s5, s4
	s_mul_i32 s5, s11, s52
	s_mul_i32 s34, s22, s52
	s_add_i32 s5, s4, s5
	s_mul_i32 s4, s10, s52
	s_and_b64 vcc, exec, s[38:39]
	s_cbranch_vccnz .LBB0_12
; %bb.3:
	s_add_u32 s38, s30, 16
	s_addc_u32 s39, s31, 0
	s_add_u32 s40, s2, 16
	s_addc_u32 s41, s3, 0
	s_add_u32 s42, s0, 16
	v_mov_b32_e32 v1, s18
	s_addc_u32 s43, s1, 0
	s_mov_b64 s[44:45], 2
	s_mov_b32 s46, 0
	v_mov_b32_e32 v2, s19
.LBB0_4:                                ; =>This Inner Loop Header: Depth=1
	s_load_dwordx2 s[48:49], s[42:43], 0x0
	s_waitcnt lgkmcnt(0)
	s_or_b64 s[0:1], s[24:25], s[48:49]
	s_mov_b32 s47, s1
	s_cmp_lg_u64 s[46:47], 0
	s_cbranch_scc0 .LBB0_9
; %bb.5:                                ;   in Loop: Header=BB0_4 Depth=1
	v_cvt_f32_u32_e32 v3, s48
	v_cvt_f32_u32_e32 v4, s49
	s_sub_u32 s0, 0, s48
	s_subb_u32 s1, 0, s49
	v_mac_f32_e32 v3, 0x4f800000, v4
	v_rcp_f32_e32 v3, v3
	v_mul_f32_e32 v3, 0x5f7ffffc, v3
	v_mul_f32_e32 v4, 0x2f800000, v3
	v_trunc_f32_e32 v4, v4
	v_mac_f32_e32 v3, 0xcf800000, v4
	v_cvt_u32_f32_e32 v4, v4
	v_cvt_u32_f32_e32 v3, v3
	v_readfirstlane_b32 s47, v4
	v_readfirstlane_b32 s50, v3
	s_mul_i32 s51, s0, s47
	s_mul_hi_u32 s54, s0, s50
	s_mul_i32 s53, s1, s50
	s_add_i32 s51, s54, s51
	s_mul_i32 s55, s0, s50
	s_add_i32 s51, s51, s53
	s_mul_hi_u32 s53, s50, s51
	s_mul_i32 s54, s50, s51
	s_mul_hi_u32 s50, s50, s55
	s_add_u32 s50, s50, s54
	s_addc_u32 s53, 0, s53
	s_mul_hi_u32 s56, s47, s55
	s_mul_i32 s55, s47, s55
	s_add_u32 s50, s50, s55
	s_mul_hi_u32 s54, s47, s51
	s_addc_u32 s50, s53, s56
	s_addc_u32 s53, s54, 0
	s_mul_i32 s51, s47, s51
	s_add_u32 s50, s50, s51
	s_addc_u32 s51, 0, s53
	v_add_co_u32_e32 v3, vcc, s50, v3
	s_cmp_lg_u64 vcc, 0
	s_addc_u32 s47, s47, s51
	v_readfirstlane_b32 s51, v3
	s_mul_i32 s50, s0, s47
	s_mul_hi_u32 s53, s0, s51
	s_add_i32 s50, s53, s50
	s_mul_i32 s1, s1, s51
	s_add_i32 s50, s50, s1
	s_mul_i32 s0, s0, s51
	s_mul_hi_u32 s53, s47, s0
	s_mul_i32 s54, s47, s0
	s_mul_i32 s56, s51, s50
	s_mul_hi_u32 s0, s51, s0
	s_mul_hi_u32 s55, s51, s50
	s_add_u32 s0, s0, s56
	s_addc_u32 s51, 0, s55
	s_add_u32 s0, s0, s54
	s_mul_hi_u32 s1, s47, s50
	s_addc_u32 s0, s51, s53
	s_addc_u32 s1, s1, 0
	s_mul_i32 s50, s47, s50
	s_add_u32 s0, s0, s50
	s_addc_u32 s1, 0, s1
	v_add_co_u32_e32 v3, vcc, s0, v3
	s_cmp_lg_u64 vcc, 0
	s_addc_u32 s0, s47, s1
	v_readfirstlane_b32 s50, v3
	s_mul_i32 s47, s24, s0
	s_mul_hi_u32 s51, s24, s50
	s_mul_hi_u32 s1, s24, s0
	s_add_u32 s47, s51, s47
	s_addc_u32 s1, 0, s1
	s_mul_hi_u32 s53, s25, s50
	s_mul_i32 s50, s25, s50
	s_add_u32 s47, s47, s50
	s_mul_hi_u32 s51, s25, s0
	s_addc_u32 s1, s1, s53
	s_addc_u32 s47, s51, 0
	s_mul_i32 s0, s25, s0
	s_add_u32 s50, s1, s0
	s_addc_u32 s47, 0, s47
	s_mul_i32 s0, s48, s47
	s_mul_hi_u32 s1, s48, s50
	s_add_i32 s0, s1, s0
	s_mul_i32 s1, s49, s50
	s_add_i32 s51, s0, s1
	s_mul_i32 s1, s48, s50
	v_mov_b32_e32 v3, s1
	s_sub_i32 s0, s25, s51
	v_sub_co_u32_e32 v3, vcc, s24, v3
	s_cmp_lg_u64 vcc, 0
	s_subb_u32 s53, s0, s49
	v_subrev_co_u32_e64 v4, s[0:1], s48, v3
	s_cmp_lg_u64 s[0:1], 0
	s_subb_u32 s0, s53, 0
	s_cmp_ge_u32 s0, s49
	v_readfirstlane_b32 s53, v4
	s_cselect_b32 s1, -1, 0
	s_cmp_ge_u32 s53, s48
	s_cselect_b32 s53, -1, 0
	s_cmp_eq_u32 s0, s49
	s_cselect_b32 s0, s53, s1
	s_add_u32 s1, s50, 1
	s_addc_u32 s53, s47, 0
	s_add_u32 s54, s50, 2
	s_addc_u32 s55, s47, 0
	s_cmp_lg_u32 s0, 0
	s_cselect_b32 s0, s54, s1
	s_cselect_b32 s1, s55, s53
	s_cmp_lg_u64 vcc, 0
	s_subb_u32 s51, s25, s51
	s_cmp_ge_u32 s51, s49
	v_readfirstlane_b32 s54, v3
	s_cselect_b32 s53, -1, 0
	s_cmp_ge_u32 s54, s48
	s_cselect_b32 s54, -1, 0
	s_cmp_eq_u32 s51, s49
	s_cselect_b32 s51, s54, s53
	s_cmp_lg_u32 s51, 0
	s_cselect_b32 s1, s1, s47
	s_cselect_b32 s0, s0, s50
	s_cbranch_execnz .LBB0_7
.LBB0_6:                                ;   in Loop: Header=BB0_4 Depth=1
	v_cvt_f32_u32_e32 v3, s48
	s_sub_i32 s0, 0, s48
	v_rcp_iflag_f32_e32 v3, v3
	v_mul_f32_e32 v3, 0x4f7ffffe, v3
	v_cvt_u32_f32_e32 v3, v3
	v_readfirstlane_b32 s1, v3
	s_mul_i32 s0, s0, s1
	s_mul_hi_u32 s0, s1, s0
	s_add_i32 s1, s1, s0
	s_mul_hi_u32 s0, s24, s1
	s_mul_i32 s47, s0, s48
	s_sub_i32 s47, s24, s47
	s_add_i32 s1, s0, 1
	s_sub_i32 s50, s47, s48
	s_cmp_ge_u32 s47, s48
	s_cselect_b32 s0, s1, s0
	s_cselect_b32 s47, s50, s47
	s_add_i32 s1, s0, 1
	s_cmp_ge_u32 s47, s48
	s_cselect_b32 s0, s1, s0
	s_mov_b32 s1, s46
.LBB0_7:                                ;   in Loop: Header=BB0_4 Depth=1
	s_mul_i32 s37, s48, s37
	s_mul_hi_u32 s47, s48, s36
	s_add_i32 s37, s47, s37
	s_mul_i32 s47, s49, s36
	s_add_i32 s37, s37, s47
	s_mul_i32 s47, s0, s49
	s_mul_hi_u32 s49, s0, s48
	s_load_dwordx2 s[50:51], s[40:41], 0x0
	s_add_i32 s47, s49, s47
	s_mul_i32 s49, s1, s48
	s_mul_i32 s36, s48, s36
	s_add_i32 s47, s47, s49
	s_mul_i32 s48, s0, s48
	s_sub_u32 s48, s24, s48
	s_subb_u32 s47, s25, s47
	s_waitcnt lgkmcnt(0)
	s_mul_i32 s24, s50, s47
	s_mul_hi_u32 s25, s50, s48
	s_add_i32 s49, s25, s24
	s_load_dwordx2 s[24:25], s[38:39], 0x0
	s_mul_i32 s51, s51, s48
	s_add_i32 s49, s49, s51
	s_mul_i32 s50, s50, s48
	s_add_u32 s34, s50, s34
	s_addc_u32 s35, s49, s35
	s_waitcnt lgkmcnt(0)
	s_mul_i32 s47, s24, s47
	s_mul_hi_u32 s49, s24, s48
	s_add_i32 s47, s49, s47
	s_mul_i32 s25, s25, s48
	s_add_i32 s47, s47, s25
	s_mul_i32 s24, s24, s48
	s_add_u32 s4, s24, s4
	s_addc_u32 s5, s47, s5
	s_add_u32 s44, s44, 1
	s_addc_u32 s45, s45, 0
	;; [unrolled: 2-line block ×4, first 2 shown]
	v_cmp_ge_u64_e32 vcc, s[44:45], v[1:2]
	s_add_u32 s42, s42, 8
	s_addc_u32 s43, s43, 0
	s_cbranch_vccnz .LBB0_10
; %bb.8:                                ;   in Loop: Header=BB0_4 Depth=1
	s_mov_b64 s[24:25], s[0:1]
	s_branch .LBB0_4
.LBB0_9:                                ;   in Loop: Header=BB0_4 Depth=1
                                        ; implicit-def: $sgpr0_sgpr1
	s_branch .LBB0_6
.LBB0_10:
	v_mov_b32_e32 v1, s36
	v_mov_b32_e32 v2, s37
	v_cmp_lt_u64_e32 vcc, s[6:7], v[1:2]
	s_mov_b64 s[24:25], 0
	s_cbranch_vccnz .LBB0_12
; %bb.11:
	v_cvt_f32_u32_e32 v1, s36
	s_sub_i32 s0, 0, s36
	v_rcp_iflag_f32_e32 v1, v1
	v_mul_f32_e32 v1, 0x4f7ffffe, v1
	v_cvt_u32_f32_e32 v1, v1
	v_readfirstlane_b32 s1, v1
	s_mul_i32 s0, s0, s1
	s_mul_hi_u32 s0, s1, s0
	s_add_i32 s1, s1, s0
	s_mul_hi_u32 s0, s6, s1
	s_mul_i32 s7, s0, s36
	s_sub_i32 s6, s6, s7
	s_add_i32 s1, s0, 1
	s_sub_i32 s7, s6, s36
	s_cmp_ge_u32 s6, s36
	s_cselect_b32 s0, s1, s0
	s_cselect_b32 s6, s7, s6
	s_add_i32 s1, s0, 1
	s_cmp_ge_u32 s6, s36
	s_cselect_b32 s24, s1, s0
.LBB0_12:
	s_lshl_b64 s[36:37], s[18:19], 3
	s_add_u32 s6, s30, s36
	s_addc_u32 s7, s31, s37
	s_add_u32 s0, s52, 9
	v_mov_b32_e32 v1, s28
	s_addc_u32 s1, s33, 0
	v_mov_b32_e32 v2, s29
	v_cmp_le_u64_e32 vcc, s[0:1], v[1:2]
	v_mul_u32_u24_e32 v1, 0x1c72, v0
	v_lshrrev_b32_e32 v32, 16, v1
	v_mul_lo_u16_e32 v1, 9, v32
	v_sub_u16_e32 v34, v0, v1
	v_mov_b32_e32 v2, s33
	v_add_co_u32_e64 v1, s[0:1], s52, v34
	v_addc_co_u32_e64 v2, s[0:1], 0, v2, s[0:1]
	v_cmp_gt_u64_e64 s[0:1], s[28:29], v[1:2]
	v_lshlrev_b32_e32 v35, 4, v32
	s_or_b64 s[0:1], vcc, s[0:1]
	v_add_u32_e32 v33, 56, v32
	s_and_saveexec_b64 s[18:19], s[0:1]
	s_cbranch_execz .LBB0_14
; %bb.13:
	s_add_u32 s2, s2, s36
	s_addc_u32 s3, s3, s37
	s_load_dwordx2 s[2:3], s[2:3], 0x0
	v_mad_u64_u32 v[1:2], s[28:29], s22, v34, 0
	v_mad_u64_u32 v[3:4], s[28:29], s20, v32, 0
	s_waitcnt lgkmcnt(0)
	s_mul_i32 s3, s3, s24
	s_mul_hi_u32 s25, s2, s24
	s_add_i32 s3, s25, s3
	s_mul_i32 s2, s2, s24
	v_mad_u64_u32 v[5:6], s[22:23], s23, v34, v[2:3]
	v_mov_b32_e32 v2, v4
	s_lshl_b64 s[2:3], s[2:3], 4
	v_mad_u64_u32 v[6:7], s[22:23], s21, v32, v[2:3]
	s_add_u32 s12, s12, s2
	s_addc_u32 s13, s13, s3
	s_lshl_b64 s[2:3], s[34:35], 4
	s_add_u32 s12, s12, s2
	s_addc_u32 s2, s13, s3
	v_mov_b32_e32 v2, v5
	v_mov_b32_e32 v4, v6
	;; [unrolled: 1-line block ×3, first 2 shown]
	v_mad_u64_u32 v[5:6], s[2:3], s20, v33, 0
	v_lshlrev_b64 v[1:2], 4, v[1:2]
	v_add_co_u32_e32 v12, vcc, s12, v1
	v_addc_co_u32_e32 v13, vcc, v7, v2, vcc
	v_lshlrev_b64 v[1:2], 4, v[3:4]
	v_mov_b32_e32 v3, v6
	v_mad_u64_u32 v[3:4], s[2:3], s21, v33, v[3:4]
	v_add_co_u32_e32 v17, vcc, v12, v1
	v_add_u32_e32 v4, 0x70, v32
	v_addc_co_u32_e32 v18, vcc, v13, v2, vcc
	v_mad_u64_u32 v[1:2], s[2:3], s20, v4, 0
	v_add_u32_e32 v6, 0xa8, v32
	v_mad_u64_u32 v[7:8], s[2:3], s20, v6, 0
	v_mad_u64_u32 v[9:10], s[2:3], s21, v4, v[2:3]
	v_mov_b32_e32 v2, v8
	v_mad_u64_u32 v[10:11], s[2:3], s21, v6, v[2:3]
	v_mov_b32_e32 v6, v3
	v_lshlrev_b64 v[3:4], 4, v[5:6]
	v_mov_b32_e32 v2, v9
	v_lshlrev_b64 v[1:2], 4, v[1:2]
	v_add_co_u32_e32 v19, vcc, v12, v3
	v_mov_b32_e32 v8, v10
	v_addc_co_u32_e32 v20, vcc, v13, v4, vcc
	v_lshlrev_b64 v[5:6], 4, v[7:8]
	v_add_co_u32_e32 v21, vcc, v12, v1
	v_addc_co_u32_e32 v22, vcc, v13, v2, vcc
	v_add_co_u32_e32 v23, vcc, v12, v5
	v_addc_co_u32_e32 v24, vcc, v13, v6, vcc
	global_load_dwordx4 v[1:4], v[17:18], off
	global_load_dwordx4 v[5:8], v[19:20], off
	;; [unrolled: 1-line block ×4, first 2 shown]
	v_mul_u32_u24_e32 v17, 0xe00, v34
	v_add3_u32 v17, 0, v17, v35
	s_waitcnt vmcnt(3)
	ds_write_b128 v17, v[1:4]
	s_waitcnt vmcnt(2)
	ds_write_b128 v17, v[5:8] offset:896
	s_waitcnt vmcnt(1)
	ds_write_b128 v17, v[9:12] offset:1792
	;; [unrolled: 2-line block ×3, first 2 shown]
.LBB0_14:
	s_or_b64 exec, exec, s[18:19]
	s_movk_i32 s2, 0x493
	v_mul_u32_u24_sdwa v1, v0, s2 dst_sel:DWORD dst_unused:UNUSED_PAD src0_sel:WORD_0 src1_sel:DWORD
	s_add_u32 s2, 0, 0x71c4fc00
	s_addc_u32 s3, 0, 0x7c
	s_add_i32 s3, s3, 0x1c71c6a0
	s_mul_hi_u32 s19, s2, -9
	s_sub_i32 s19, s19, s2
	s_mul_i32 s20, s3, -9
	s_mul_i32 s12, s2, -9
	s_add_i32 s19, s19, s20
	s_mul_hi_u32 s13, s3, s12
	s_mul_i32 s18, s3, s12
	s_mul_i32 s21, s2, s19
	s_mul_hi_u32 s12, s2, s12
	s_mul_hi_u32 s20, s2, s19
	s_add_u32 s12, s12, s21
	s_addc_u32 s20, 0, s20
	s_add_u32 s12, s12, s18
	s_mul_hi_u32 s21, s3, s19
	s_addc_u32 s12, s20, s13
	v_lshrrev_b32_e32 v5, 16, v1
	s_addc_u32 s13, s21, 0
	s_mul_i32 s18, s3, s19
	v_mov_b32_e32 v1, s33
	v_add_co_u32_e32 v37, vcc, s52, v5
	s_add_u32 s12, s12, s18
	v_addc_co_u32_e32 v6, vcc, 0, v1, vcc
	v_mov_b32_e32 v1, s12
	s_addc_u32 s13, 0, s13
	v_add_co_u32_e32 v3, vcc, s2, v1
	s_cmp_lg_u64 vcc, 0
	s_addc_u32 s12, s3, s13
	v_mad_u64_u32 v[1:2], s[2:3], v37, s12, 0
	v_mul_hi_u32 v4, v37, v3
	s_waitcnt lgkmcnt(0)
	s_barrier
	v_add_co_u32_e32 v7, vcc, v4, v1
	v_addc_co_u32_e32 v8, vcc, 0, v2, vcc
	v_mad_u64_u32 v[1:2], s[2:3], v6, v3, 0
	v_mad_u64_u32 v[3:4], s[2:3], v6, s12, 0
	v_add_co_u32_e32 v1, vcc, v7, v1
	v_addc_co_u32_e32 v1, vcc, v8, v2, vcc
	v_addc_co_u32_e32 v2, vcc, 0, v4, vcc
	v_add_co_u32_e32 v1, vcc, v1, v3
	v_addc_co_u32_e32 v3, vcc, 0, v2, vcc
	v_mad_u64_u32 v[1:2], s[2:3], v1, 9, 0
	s_mov_b32 s13, 0x3fe6a09e
	v_mad_u64_u32 v[2:3], s[2:3], v3, 9, v[2:3]
	v_sub_co_u32_e32 v1, vcc, v37, v1
	v_subb_co_u32_e32 v2, vcc, v6, v2, vcc
	v_subrev_co_u32_e32 v3, vcc, 9, v1
	v_subbrev_co_u32_e32 v4, vcc, 0, v2, vcc
	v_cmp_lt_u32_e32 vcc, 8, v3
	v_cndmask_b32_e64 v6, 0, -1, vcc
	v_cmp_eq_u32_e32 vcc, 0, v4
	v_cndmask_b32_e32 v4, -1, v6, vcc
	v_add_u32_e32 v6, -9, v3
	v_cmp_ne_u32_e32 vcc, 0, v4
	v_cndmask_b32_e32 v3, v3, v6, vcc
	v_cmp_lt_u32_e32 vcc, 8, v1
	v_cndmask_b32_e64 v4, 0, -1, vcc
	v_cmp_eq_u32_e32 vcc, 0, v2
	v_cndmask_b32_e32 v2, -1, v4, vcc
	v_cmp_ne_u32_e32 vcc, 0, v2
	v_mul_lo_u16_e32 v2, 56, v5
	v_cndmask_b32_e32 v1, v1, v3, vcc
	v_sub_u16_e32 v39, v0, v2
	v_mul_u32_u24_e32 v1, 0xe0, v1
	v_lshlrev_b32_e32 v0, 4, v39
	v_lshlrev_b32_e32 v40, 4, v1
	v_add_u32_e32 v41, 0, v0
	v_add_u32_e32 v36, v41, v40
	v_add3_u32 v38, 0, v40, v0
	ds_read_b128 v[0:3], v36 offset:1792
	ds_read_b128 v[4:7], v38
	ds_read_b128 v[8:11], v36 offset:448
	ds_read_b128 v[12:15], v36 offset:2240
	;; [unrolled: 1-line block ×6, first 2 shown]
	s_waitcnt lgkmcnt(6)
	v_add_f64 v[0:1], v[4:5], -v[0:1]
	v_add_f64 v[2:3], v[6:7], -v[2:3]
	s_waitcnt lgkmcnt(4)
	v_add_f64 v[12:13], v[8:9], -v[12:13]
	s_waitcnt lgkmcnt(2)
	v_add_f64 v[16:17], v[20:21], -v[16:17]
	v_add_f64 v[18:19], v[22:23], -v[18:19]
	s_waitcnt lgkmcnt(0)
	v_add_f64 v[30:31], v[26:27], -v[30:31]
	v_add_f64 v[14:15], v[10:11], -v[14:15]
	v_add_f64 v[28:29], v[24:25], -v[28:29]
	v_fma_f64 v[4:5], v[4:5], 2.0, -v[0:1]
	v_fma_f64 v[6:7], v[6:7], 2.0, -v[2:3]
	;; [unrolled: 1-line block ×5, first 2 shown]
	v_add_f64 v[42:43], v[0:1], -v[18:19]
	v_add_f64 v[44:45], v[12:13], -v[30:31]
	v_fma_f64 v[10:11], v[10:11], 2.0, -v[14:15]
	v_fma_f64 v[18:19], v[24:25], 2.0, -v[28:29]
	v_fma_f64 v[24:25], v[26:27], 2.0, -v[30:31]
	v_add_f64 v[26:27], v[2:3], v[16:17]
	v_add_f64 v[28:29], v[14:15], v[28:29]
	v_add_f64 v[20:21], v[4:5], -v[20:21]
	v_fma_f64 v[46:47], v[0:1], 2.0, -v[42:43]
	v_fma_f64 v[0:1], v[12:13], 2.0, -v[44:45]
	v_add_f64 v[22:23], v[6:7], -v[22:23]
	v_add_f64 v[30:31], v[8:9], -v[18:19]
	;; [unrolled: 1-line block ×3, first 2 shown]
	v_fma_f64 v[24:25], v[2:3], 2.0, -v[26:27]
	v_fma_f64 v[2:3], v[14:15], 2.0, -v[28:29]
	s_mov_b32 s2, 0x667f3bcd
	s_mov_b32 s3, 0xbfe6a09e
	;; [unrolled: 1-line block ×3, first 2 shown]
	v_fma_f64 v[48:49], v[4:5], 2.0, -v[20:21]
	v_fma_f64 v[50:51], v[6:7], 2.0, -v[22:23]
	;; [unrolled: 1-line block ×4, first 2 shown]
	v_fma_f64 v[8:9], v[0:1], s[2:3], v[46:47]
	v_fma_f64 v[10:11], v[2:3], s[2:3], v[24:25]
	;; [unrolled: 1-line block ×4, first 2 shown]
	v_add_f64 v[12:13], v[20:21], -v[12:13]
	v_add_f64 v[14:15], v[22:23], v[30:31]
	v_add_f64 v[4:5], v[48:49], -v[4:5]
	v_add_f64 v[6:7], v[50:51], -v[6:7]
	v_fma_f64 v[16:17], v[2:3], s[2:3], v[8:9]
	v_fma_f64 v[18:19], v[0:1], s[12:13], v[10:11]
	;; [unrolled: 1-line block ×4, first 2 shown]
	v_fma_f64 v[20:21], v[20:21], 2.0, -v[12:13]
	v_fma_f64 v[22:23], v[22:23], 2.0, -v[14:15]
	;; [unrolled: 1-line block ×8, first 2 shown]
	v_cmp_gt_u16_e32 vcc, 28, v39
	s_barrier
	s_and_saveexec_b64 s[2:3], vcc
	s_cbranch_execz .LBB0_16
; %bb.15:
	v_mul_u32_u24_e32 v42, 0x70, v39
	v_add3_u32 v41, v41, v42, v40
	ds_write_b128 v41, v[0:3]
	ds_write_b128 v41, v[8:11] offset:16
	ds_write_b128 v41, v[20:23] offset:32
	;; [unrolled: 1-line block ×7, first 2 shown]
.LBB0_16:
	s_or_b64 exec, exec, s[2:3]
	v_cmp_gt_u16_e32 vcc, 32, v39
	s_waitcnt lgkmcnt(0)
	s_barrier
	s_and_saveexec_b64 s[2:3], vcc
	s_cbranch_execz .LBB0_18
; %bb.17:
	ds_read_b128 v[0:3], v38
	ds_read_b128 v[8:11], v36 offset:512
	ds_read_b128 v[20:23], v36 offset:1024
	;; [unrolled: 1-line block ×6, first 2 shown]
.LBB0_18:
	s_or_b64 exec, exec, s[2:3]
	s_waitcnt lgkmcnt(0)
	s_barrier
	s_and_saveexec_b64 s[2:3], vcc
	s_cbranch_execz .LBB0_20
; %bb.19:
	v_and_b32_e32 v28, 7, v39
	v_mul_u32_u24_e32 v29, 6, v28
	v_lshlrev_b32_e32 v31, 4, v29
	global_load_dwordx4 v[41:44], v31, s[26:27] offset:32
	global_load_dwordx4 v[45:48], v31, s[26:27] offset:16
	s_mov_b32 s30, 0xe976ee23
	s_mov_b32 s31, 0xbfe11646
	;; [unrolled: 1-line block ×16, first 2 shown]
	s_waitcnt vmcnt(1)
	v_mul_f64 v[29:30], v[26:27], v[43:44]
	v_mul_f64 v[43:44], v[24:25], v[43:44]
	v_fma_f64 v[29:30], v[24:25], v[41:42], -v[29:30]
	v_fma_f64 v[24:25], v[26:27], v[41:42], v[43:44]
	s_waitcnt vmcnt(0)
	v_mul_f64 v[26:27], v[22:23], v[47:48]
	v_mul_f64 v[47:48], v[20:21], v[47:48]
	global_load_dwordx4 v[41:44], v31, s[26:27]
	v_fma_f64 v[26:27], v[20:21], v[45:46], -v[26:27]
	v_fma_f64 v[20:21], v[22:23], v[45:46], v[47:48]
	global_load_dwordx4 v[45:48], v31, s[26:27] offset:64
	s_waitcnt vmcnt(0)
	v_mul_f64 v[22:23], v[18:19], v[47:48]
	v_mul_f64 v[47:48], v[16:17], v[47:48]
	v_fma_f64 v[22:23], v[16:17], v[45:46], -v[22:23]
	v_fma_f64 v[16:17], v[18:19], v[45:46], v[47:48]
	global_load_dwordx4 v[45:48], v31, s[26:27] offset:80
	v_mul_f64 v[18:19], v[10:11], v[43:44]
	v_mul_f64 v[43:44], v[8:9], v[43:44]
	v_fma_f64 v[18:19], v[8:9], v[41:42], -v[18:19]
	v_fma_f64 v[41:42], v[10:11], v[41:42], v[43:44]
	global_load_dwordx4 v[8:11], v31, s[26:27] offset:48
	s_waitcnt vmcnt(1)
	v_mul_f64 v[43:44], v[14:15], v[47:48]
	v_mul_f64 v[47:48], v[12:13], v[47:48]
	v_fma_f64 v[12:13], v[12:13], v[45:46], -v[43:44]
	v_fma_f64 v[14:15], v[14:15], v[45:46], v[47:48]
	s_waitcnt vmcnt(0)
	v_mul_f64 v[43:44], v[6:7], v[10:11]
	v_mul_f64 v[10:11], v[4:5], v[10:11]
	v_add_f64 v[45:46], v[18:19], v[12:13]
	v_add_f64 v[12:13], v[18:19], -v[12:13]
	v_fma_f64 v[4:5], v[4:5], v[8:9], -v[43:44]
	v_fma_f64 v[6:7], v[6:7], v[8:9], v[10:11]
	v_add_f64 v[8:9], v[20:21], v[16:17]
	v_add_f64 v[10:11], v[41:42], v[14:15]
	;; [unrolled: 1-line block ×3, first 2 shown]
	v_add_f64 v[22:23], v[26:27], -v[22:23]
	v_add_f64 v[16:17], v[20:21], -v[16:17]
	;; [unrolled: 1-line block ×4, first 2 shown]
	v_add_f64 v[26:27], v[24:25], v[6:7]
	v_add_f64 v[29:30], v[29:30], v[4:5]
	;; [unrolled: 1-line block ×3, first 2 shown]
	v_add_f64 v[5:6], v[6:7], -v[24:25]
	v_add_f64 v[51:52], v[43:44], v[45:46]
	v_lshrrev_b32_e32 v4, 3, v39
	v_mul_u32_u24_e32 v4, 56, v4
	v_add_f64 v[20:21], v[47:48], v[22:23]
	v_add_f64 v[24:25], v[47:48], -v[22:23]
	v_add_f64 v[41:42], v[12:13], -v[47:48]
	v_add_f64 v[18:19], v[26:27], v[49:50]
	v_add_f64 v[47:48], v[26:27], -v[8:9]
	v_add_f64 v[26:27], v[10:11], -v[26:27]
	v_add_f64 v[7:8], v[8:9], -v[10:11]
	v_add_f64 v[9:10], v[5:6], -v[16:17]
	v_or_b32_e32 v4, v4, v28
	v_add_f64 v[49:50], v[29:30], v[51:52]
	v_add_f64 v[51:52], v[29:30], -v[43:44]
	v_add_f64 v[28:29], v[45:46], -v[29:30]
	;; [unrolled: 1-line block ×4, first 2 shown]
	v_add_f64 v[43:44], v[5:6], v[16:17]
	v_add_f64 v[16:17], v[16:17], -v[14:15]
	v_add_f64 v[5:6], v[14:15], -v[5:6]
	v_mul_f64 v[24:25], v[24:25], s[30:31]
	v_mul_f64 v[9:10], v[9:10], s[30:31]
	v_add_f64 v[11:12], v[20:21], v[12:13]
	v_mul_f64 v[20:21], v[26:27], s[34:35]
	v_mul_f64 v[26:27], v[28:29], s[34:35]
	;; [unrolled: 1-line block ×3, first 2 shown]
	v_add_f64 v[13:14], v[43:44], v[14:15]
	v_mul_f64 v[43:44], v[16:17], s[36:37]
	v_fma_f64 v[22:23], v[22:23], s[36:37], -v[24:25]
	v_fma_f64 v[24:25], v[41:42], s[22:23], v[24:25]
	v_fma_f64 v[15:16], v[16:17], s[36:37], -v[9:10]
	v_fma_f64 v[9:10], v[5:6], s[22:23], v[9:10]
	s_mov_b32 s23, 0xbfd5d0dc
	v_add_f64 v[2:3], v[2:3], v[18:19]
	v_add_f64 v[0:1], v[0:1], v[49:50]
	v_fma_f64 v[28:29], v[41:42], s[22:23], -v[28:29]
	v_mul_f64 v[41:42], v[47:48], s[20:21]
	v_fma_f64 v[5:6], v[5:6], s[22:23], -v[43:44]
	v_mul_f64 v[43:44], v[51:52], s[20:21]
	v_fma_f64 v[45:46], v[47:48], s[20:21], v[20:21]
	v_fma_f64 v[47:48], v[51:52], s[20:21], v[26:27]
	v_fma_f64 v[20:21], v[7:8], s[28:29], -v[20:21]
	v_fma_f64 v[26:27], v[30:31], s[28:29], -v[26:27]
	s_mov_b32 s29, 0x3fe77f67
	v_fma_f64 v[17:18], v[18:19], s[18:19], v[2:3]
	v_fma_f64 v[7:8], v[7:8], s[28:29], -v[41:42]
	v_fma_f64 v[41:42], v[11:12], s[12:13], v[24:25]
	v_fma_f64 v[24:25], v[49:50], s[18:19], v[0:1]
	v_fma_f64 v[30:31], v[30:31], s[28:29], -v[43:44]
	v_fma_f64 v[43:44], v[13:14], s[12:13], v[9:10]
	v_fma_f64 v[9:10], v[11:12], s[12:13], v[22:23]
	;; [unrolled: 1-line block ×3, first 2 shown]
	v_add_f64 v[28:29], v[45:46], v[17:18]
	v_add_f64 v[45:46], v[20:21], v[17:18]
	v_fma_f64 v[5:6], v[13:14], s[12:13], v[5:6]
	v_add_f64 v[47:48], v[47:48], v[24:25]
	v_add_f64 v[51:52], v[26:27], v[24:25]
	;; [unrolled: 1-line block ×3, first 2 shown]
	v_fma_f64 v[49:50], v[13:14], s[12:13], v[15:16]
	v_add_f64 v[13:14], v[30:31], v[24:25]
	v_add_f64 v[7:8], v[41:42], v[28:29]
	v_add_f64 v[27:28], v[28:29], -v[41:42]
	v_add_f64 v[11:12], v[22:23], v[45:46]
	v_add_f64 v[25:26], v[43:44], v[47:48]
	v_add_f64 v[23:24], v[45:46], -v[22:23]
	v_add_f64 v[21:22], v[5:6], v[51:52]
	v_add_f64 v[15:16], v[17:18], -v[9:10]
	;; [unrolled: 2-line block ×4, first 2 shown]
	v_lshlrev_b32_e32 v4, 4, v4
	v_add_f64 v[5:6], v[47:48], -v[43:44]
	v_add3_u32 v4, 0, v4, v40
	ds_write_b128 v4, v[0:3]
	ds_write_b128 v4, v[25:28] offset:128
	ds_write_b128 v4, v[21:24] offset:256
	;; [unrolled: 1-line block ×6, first 2 shown]
.LBB0_20:
	s_or_b64 exec, exec, s[2:3]
	v_mul_u32_u24_e32 v0, 3, v39
	v_lshlrev_b32_e32 v24, 4, v0
	s_load_dwordx2 s[2:3], s[6:7], 0x0
	s_waitcnt lgkmcnt(0)
	s_barrier
	global_load_dwordx4 v[0:3], v24, s[26:27] offset:768
	global_load_dwordx4 v[4:7], v24, s[26:27] offset:784
	v_add_u32_e32 v25, 56, v39
	v_add_u32_e32 v26, 0x70, v39
	;; [unrolled: 1-line block ×3, first 2 shown]
	ds_read_b128 v[8:11], v36 offset:1792
	ds_read_b128 v[12:15], v36 offset:2688
	;; [unrolled: 1-line block ×3, first 2 shown]
	ds_read_b128 v[20:23], v38
	v_mul_lo_u32 v29, v37, v25
	v_mul_lo_u32 v30, v37, v26
	;; [unrolled: 1-line block ×3, first 2 shown]
	global_load_dwordx4 v[24:27], v24, s[26:27] offset:800
	v_mul_lo_u32 v28, v37, v39
	v_mov_b32_e32 v55, 4
	v_mov_b32_e32 v56, 0x1000
	v_lshlrev_b32_sdwa v51, v55, v29 dst_sel:DWORD dst_unused:UNUSED_PAD src0_sel:DWORD src1_sel:BYTE_0
	v_lshlrev_b32_sdwa v41, v55, v28 dst_sel:DWORD dst_unused:UNUSED_PAD src0_sel:DWORD src1_sel:BYTE_0
	v_bfe_u32 v28, v28, 8, 8
	v_lshl_or_b32 v42, v28, 4, v56
	v_bfe_u32 v43, v29, 8, 8
	v_lshlrev_b32_sdwa v58, v55, v30 dst_sel:DWORD dst_unused:UNUSED_PAD src0_sel:DWORD src1_sel:BYTE_0
	v_bfe_u32 v44, v30, 8, 8
	global_load_dwordx4 v[28:31], v41, s[16:17]
	global_load_dwordx4 v[37:40], v42, s[16:17]
	v_lshl_or_b32 v52, v43, 4, v56
	v_lshl_or_b32 v59, v44, 4, v56
	global_load_dwordx4 v[41:44], v51, s[16:17]
	global_load_dwordx4 v[45:48], v52, s[16:17]
	s_waitcnt vmcnt(6) lgkmcnt(1)
	v_mul_f64 v[49:50], v[18:19], v[2:3]
	v_mul_f64 v[2:3], v[16:17], v[2:3]
	s_waitcnt vmcnt(5)
	v_mul_f64 v[51:52], v[10:11], v[6:7]
	v_mul_f64 v[6:7], v[8:9], v[6:7]
	v_fma_f64 v[49:50], v[16:17], v[0:1], -v[49:50]
	v_fma_f64 v[53:54], v[18:19], v[0:1], v[2:3]
	global_load_dwordx4 v[0:3], v58, s[16:17]
	global_load_dwordx4 v[16:19], v59, s[16:17]
	v_lshlrev_b32_sdwa v58, v55, v57 dst_sel:DWORD dst_unused:UNUSED_PAD src0_sel:DWORD src1_sel:BYTE_0
	v_bfe_u32 v55, v57, 8, 8
	v_lshl_or_b32 v57, v55, 4, v56
	v_fma_f64 v[51:52], v[8:9], v[4:5], -v[51:52]
	v_fma_f64 v[55:56], v[10:11], v[4:5], v[6:7]
	global_load_dwordx4 v[4:7], v58, s[16:17]
	global_load_dwordx4 v[8:11], v57, s[16:17]
	s_waitcnt vmcnt(8)
	v_mul_f64 v[57:58], v[12:13], v[26:27]
	v_mul_f64 v[26:27], v[14:15], v[26:27]
	s_waitcnt vmcnt(0) lgkmcnt(0)
	s_barrier
	v_add_f64 v[51:52], v[20:21], -v[51:52]
	v_add_f64 v[55:56], v[22:23], -v[55:56]
	v_fma_f64 v[14:15], v[14:15], v[24:25], v[57:58]
	v_fma_f64 v[12:13], v[12:13], v[24:25], -v[26:27]
	v_mul_f64 v[24:25], v[30:31], v[39:40]
	v_mul_f64 v[26:27], v[28:29], v[39:40]
	;; [unrolled: 1-line block ×3, first 2 shown]
	v_fma_f64 v[20:21], v[20:21], 2.0, -v[51:52]
	v_fma_f64 v[22:23], v[22:23], 2.0, -v[55:56]
	v_mul_f64 v[47:48], v[41:42], v[47:48]
	v_add_f64 v[14:15], v[53:54], -v[14:15]
	v_add_f64 v[12:13], v[49:50], -v[12:13]
	v_fma_f64 v[24:25], v[28:29], v[37:38], -v[24:25]
	v_fma_f64 v[26:27], v[30:31], v[37:38], v[26:27]
	v_fma_f64 v[39:40], v[41:42], v[45:46], -v[39:40]
	v_fma_f64 v[41:42], v[43:44], v[45:46], v[47:48]
	v_fma_f64 v[28:29], v[53:54], 2.0, -v[14:15]
	v_fma_f64 v[30:31], v[49:50], 2.0, -v[12:13]
	v_add_f64 v[12:13], v[55:56], v[12:13]
	v_add_f64 v[14:15], v[51:52], -v[14:15]
	v_add_f64 v[28:29], v[22:23], -v[28:29]
	;; [unrolled: 1-line block ×3, first 2 shown]
	v_fma_f64 v[43:44], v[55:56], 2.0, -v[12:13]
	v_fma_f64 v[45:46], v[51:52], 2.0, -v[14:15]
	v_mul_f64 v[57:58], v[2:3], v[18:19]
	v_mul_f64 v[18:19], v[0:1], v[18:19]
	;; [unrolled: 1-line block ×4, first 2 shown]
	v_fma_f64 v[6:7], v[6:7], v[8:9], v[37:38]
	v_fma_f64 v[37:38], v[0:1], v[16:17], -v[57:58]
	v_fma_f64 v[0:1], v[2:3], v[16:17], v[18:19]
	v_fma_f64 v[16:17], v[22:23], 2.0, -v[28:29]
	v_fma_f64 v[18:19], v[20:21], 2.0, -v[30:31]
	v_fma_f64 v[2:3], v[4:5], v[8:9], -v[10:11]
	v_mul_f64 v[8:9], v[43:44], v[41:42]
	v_mul_f64 v[10:11], v[45:46], v[41:42]
	;; [unrolled: 1-line block ×8, first 2 shown]
	v_fma_f64 v[0:1], v[14:15], v[2:3], -v[4:5]
	v_fma_f64 v[2:3], v[12:13], v[2:3], v[6:7]
	v_fma_f64 v[4:5], v[45:46], v[39:40], -v[8:9]
	v_fma_f64 v[6:7], v[43:44], v[39:40], v[10:11]
	;; [unrolled: 2-line block ×4, first 2 shown]
	ds_write_b128 v36, v[0:3] offset:2688
	ds_write_b128 v36, v[4:7] offset:896
	;; [unrolled: 1-line block ×3, first 2 shown]
	ds_write_b128 v36, v[12:15]
	s_waitcnt lgkmcnt(0)
	s_barrier
	s_and_saveexec_b64 s[6:7], s[0:1]
	s_cbranch_execz .LBB0_22
; %bb.21:
	v_mad_u64_u32 v[4:5], s[6:7], s10, v34, 0
	s_mul_i32 s0, s3, s24
	s_mul_hi_u32 s1, s2, s24
	s_add_i32 s1, s1, s0
	s_mul_i32 s0, s2, s24
	v_mad_u64_u32 v[6:7], s[2:3], s8, v32, 0
	v_mov_b32_e32 v0, v5
	v_mad_u64_u32 v[0:1], s[2:3], s11, v34, v[0:1]
	v_mov_b32_e32 v1, v7
	v_mad_u64_u32 v[1:2], s[2:3], s9, v32, v[1:2]
	s_lshl_b64 s[0:1], s[0:1], 4
	s_add_u32 s2, s14, s0
	v_mov_b32_e32 v5, v0
	s_addc_u32 s3, s15, s1
	s_lshl_b64 s[0:1], s[4:5], 4
	v_mul_u32_u24_e32 v0, 0xe00, v34
	s_add_u32 s0, s2, s0
	v_lshlrev_b64 v[4:5], 4, v[4:5]
	v_add3_u32 v14, 0, v0, v35
	s_addc_u32 s1, s3, s1
	v_mov_b32_e32 v7, v1
	ds_read_b128 v[0:3], v14
	v_mov_b32_e32 v8, s1
	v_add_co_u32_e32 v15, vcc, s0, v4
	v_addc_co_u32_e32 v16, vcc, v8, v5, vcc
	v_lshlrev_b64 v[4:5], 4, v[6:7]
	v_mad_u64_u32 v[8:9], s[0:1], s8, v33, 0
	v_add_co_u32_e32 v10, vcc, v15, v4
	v_addc_co_u32_e32 v11, vcc, v16, v5, vcc
	ds_read_b128 v[4:7], v14 offset:896
	s_waitcnt lgkmcnt(1)
	global_store_dwordx4 v[10:11], v[0:3], off
	s_nop 0
	v_mov_b32_e32 v0, v9
	v_mad_u64_u32 v[0:1], s[0:1], s9, v33, v[0:1]
	v_add_u32_e32 v3, 0x70, v32
	v_mad_u64_u32 v[1:2], s[0:1], s8, v3, 0
	v_mov_b32_e32 v9, v0
	v_lshlrev_b64 v[8:9], 4, v[8:9]
	v_mov_b32_e32 v0, v2
	v_add_co_u32_e32 v8, vcc, v15, v8
	v_mad_u64_u32 v[2:3], s[0:1], s9, v3, v[0:1]
	v_addc_co_u32_e32 v9, vcc, v16, v9, vcc
	s_waitcnt lgkmcnt(0)
	global_store_dwordx4 v[8:9], v[4:7], off
	v_lshlrev_b64 v[0:1], 4, v[1:2]
	v_add_u32_e32 v5, 0xa8, v32
	v_mad_u64_u32 v[8:9], s[0:1], s8, v5, 0
	v_add_co_u32_e32 v10, vcc, v15, v0
	v_mov_b32_e32 v4, v9
	v_addc_co_u32_e32 v11, vcc, v16, v1, vcc
	ds_read_b128 v[0:3], v14 offset:1792
	v_mad_u64_u32 v[12:13], s[0:1], s9, v5, v[4:5]
	ds_read_b128 v[4:7], v14 offset:2688
	v_mov_b32_e32 v9, v12
	s_waitcnt lgkmcnt(1)
	global_store_dwordx4 v[10:11], v[0:3], off
	s_nop 0
	v_lshlrev_b64 v[0:1], 4, v[8:9]
	v_add_co_u32_e32 v0, vcc, v15, v0
	v_addc_co_u32_e32 v1, vcc, v16, v1, vcc
	s_waitcnt lgkmcnt(0)
	global_store_dwordx4 v[0:1], v[4:7], off
.LBB0_22:
	s_endpgm
	.section	.rodata,"a",@progbits
	.p2align	6, 0x0
	.amdhsa_kernel fft_rtc_fwd_len224_factors_8_7_4_wgs_504_tpt_56_dp_op_CI_CI_sbcc_twdbase8_2step
		.amdhsa_group_segment_fixed_size 0
		.amdhsa_private_segment_fixed_size 0
		.amdhsa_kernarg_size 112
		.amdhsa_user_sgpr_count 6
		.amdhsa_user_sgpr_private_segment_buffer 1
		.amdhsa_user_sgpr_dispatch_ptr 0
		.amdhsa_user_sgpr_queue_ptr 0
		.amdhsa_user_sgpr_kernarg_segment_ptr 1
		.amdhsa_user_sgpr_dispatch_id 0
		.amdhsa_user_sgpr_flat_scratch_init 0
		.amdhsa_user_sgpr_private_segment_size 0
		.amdhsa_uses_dynamic_stack 0
		.amdhsa_system_sgpr_private_segment_wavefront_offset 0
		.amdhsa_system_sgpr_workgroup_id_x 1
		.amdhsa_system_sgpr_workgroup_id_y 0
		.amdhsa_system_sgpr_workgroup_id_z 0
		.amdhsa_system_sgpr_workgroup_info 0
		.amdhsa_system_vgpr_workitem_id 0
		.amdhsa_next_free_vgpr 60
		.amdhsa_next_free_sgpr 57
		.amdhsa_reserve_vcc 1
		.amdhsa_reserve_flat_scratch 0
		.amdhsa_float_round_mode_32 0
		.amdhsa_float_round_mode_16_64 0
		.amdhsa_float_denorm_mode_32 3
		.amdhsa_float_denorm_mode_16_64 3
		.amdhsa_dx10_clamp 1
		.amdhsa_ieee_mode 1
		.amdhsa_fp16_overflow 0
		.amdhsa_exception_fp_ieee_invalid_op 0
		.amdhsa_exception_fp_denorm_src 0
		.amdhsa_exception_fp_ieee_div_zero 0
		.amdhsa_exception_fp_ieee_overflow 0
		.amdhsa_exception_fp_ieee_underflow 0
		.amdhsa_exception_fp_ieee_inexact 0
		.amdhsa_exception_int_div_zero 0
	.end_amdhsa_kernel
	.text
.Lfunc_end0:
	.size	fft_rtc_fwd_len224_factors_8_7_4_wgs_504_tpt_56_dp_op_CI_CI_sbcc_twdbase8_2step, .Lfunc_end0-fft_rtc_fwd_len224_factors_8_7_4_wgs_504_tpt_56_dp_op_CI_CI_sbcc_twdbase8_2step
                                        ; -- End function
	.section	.AMDGPU.csdata,"",@progbits
; Kernel info:
; codeLenInByte = 5444
; NumSgprs: 61
; NumVgprs: 60
; ScratchSize: 0
; MemoryBound: 0
; FloatMode: 240
; IeeeMode: 1
; LDSByteSize: 0 bytes/workgroup (compile time only)
; SGPRBlocks: 7
; VGPRBlocks: 14
; NumSGPRsForWavesPerEU: 61
; NumVGPRsForWavesPerEU: 60
; Occupancy: 4
; WaveLimiterHint : 1
; COMPUTE_PGM_RSRC2:SCRATCH_EN: 0
; COMPUTE_PGM_RSRC2:USER_SGPR: 6
; COMPUTE_PGM_RSRC2:TRAP_HANDLER: 0
; COMPUTE_PGM_RSRC2:TGID_X_EN: 1
; COMPUTE_PGM_RSRC2:TGID_Y_EN: 0
; COMPUTE_PGM_RSRC2:TGID_Z_EN: 0
; COMPUTE_PGM_RSRC2:TIDIG_COMP_CNT: 0
	.type	__hip_cuid_6fb27e6c002a8bb9,@object ; @__hip_cuid_6fb27e6c002a8bb9
	.section	.bss,"aw",@nobits
	.globl	__hip_cuid_6fb27e6c002a8bb9
__hip_cuid_6fb27e6c002a8bb9:
	.byte	0                               ; 0x0
	.size	__hip_cuid_6fb27e6c002a8bb9, 1

	.ident	"AMD clang version 19.0.0git (https://github.com/RadeonOpenCompute/llvm-project roc-6.4.0 25133 c7fe45cf4b819c5991fe208aaa96edf142730f1d)"
	.section	".note.GNU-stack","",@progbits
	.addrsig
	.addrsig_sym __hip_cuid_6fb27e6c002a8bb9
	.amdgpu_metadata
---
amdhsa.kernels:
  - .args:
      - .actual_access:  read_only
        .address_space:  global
        .offset:         0
        .size:           8
        .value_kind:     global_buffer
      - .address_space:  global
        .offset:         8
        .size:           8
        .value_kind:     global_buffer
      - .offset:         16
        .size:           8
        .value_kind:     by_value
      - .actual_access:  read_only
        .address_space:  global
        .offset:         24
        .size:           8
        .value_kind:     global_buffer
      - .actual_access:  read_only
        .address_space:  global
        .offset:         32
        .size:           8
        .value_kind:     global_buffer
      - .actual_access:  read_only
        .address_space:  global
        .offset:         40
        .size:           8
        .value_kind:     global_buffer
      - .offset:         48
        .size:           8
        .value_kind:     by_value
      - .actual_access:  read_only
        .address_space:  global
        .offset:         56
        .size:           8
        .value_kind:     global_buffer
      - .actual_access:  read_only
        .address_space:  global
        .offset:         64
        .size:           8
        .value_kind:     global_buffer
      - .offset:         72
        .size:           4
        .value_kind:     by_value
      - .actual_access:  read_only
        .address_space:  global
        .offset:         80
        .size:           8
        .value_kind:     global_buffer
      - .actual_access:  read_only
        .address_space:  global
        .offset:         88
        .size:           8
        .value_kind:     global_buffer
      - .actual_access:  read_only
        .address_space:  global
        .offset:         96
        .size:           8
        .value_kind:     global_buffer
      - .actual_access:  write_only
        .address_space:  global
        .offset:         104
        .size:           8
        .value_kind:     global_buffer
    .group_segment_fixed_size: 0
    .kernarg_segment_align: 8
    .kernarg_segment_size: 112
    .language:       OpenCL C
    .language_version:
      - 2
      - 0
    .max_flat_workgroup_size: 504
    .name:           fft_rtc_fwd_len224_factors_8_7_4_wgs_504_tpt_56_dp_op_CI_CI_sbcc_twdbase8_2step
    .private_segment_fixed_size: 0
    .sgpr_count:     61
    .sgpr_spill_count: 0
    .symbol:         fft_rtc_fwd_len224_factors_8_7_4_wgs_504_tpt_56_dp_op_CI_CI_sbcc_twdbase8_2step.kd
    .uniform_work_group_size: 1
    .uses_dynamic_stack: false
    .vgpr_count:     60
    .vgpr_spill_count: 0
    .wavefront_size: 64
amdhsa.target:   amdgcn-amd-amdhsa--gfx906
amdhsa.version:
  - 1
  - 2
...

	.end_amdgpu_metadata
